;; amdgpu-corpus repo=ROCm/rocFFT kind=compiled arch=gfx950 opt=O3
	.text
	.amdgcn_target "amdgcn-amd-amdhsa--gfx950"
	.amdhsa_code_object_version 6
	.protected	bluestein_single_back_len36_dim1_sp_op_CI_CI ; -- Begin function bluestein_single_back_len36_dim1_sp_op_CI_CI
	.globl	bluestein_single_back_len36_dim1_sp_op_CI_CI
	.p2align	8
	.type	bluestein_single_back_len36_dim1_sp_op_CI_CI,@function
bluestein_single_back_len36_dim1_sp_op_CI_CI: ; @bluestein_single_back_len36_dim1_sp_op_CI_CI
; %bb.0:
	s_load_dwordx4 s[16:19], s[0:1], 0x28
	v_mul_u32_u24_e32 v1, 0x2aab, v0
	v_lshrrev_b32_e32 v2, 16, v1
	v_mad_u64_u32 v[8:9], s[2:3], s2, 10, v[2:3]
	v_mov_b32_e32 v9, 0
	s_waitcnt lgkmcnt(0)
	v_cmp_gt_u64_e32 vcc, s[16:17], v[8:9]
	s_and_saveexec_b64 s[2:3], vcc
	s_cbranch_execz .LBB0_2
; %bb.1:
	s_load_dwordx4 s[4:7], s[0:1], 0x18
	s_load_dwordx4 s[8:11], s[0:1], 0x0
	v_mul_lo_u16_e32 v1, 6, v2
	v_sub_u16_e32 v27, v0, v1
	v_or_b32_e32 v9, 24, v27
	s_waitcnt lgkmcnt(0)
	s_load_dwordx4 s[12:15], s[4:5], 0x0
	v_mov_b32_e32 v4, s18
	v_mov_b32_e32 v5, s19
	v_lshlrev_b32_e32 v29, 3, v27
	v_mov_b32_e32 v25, 0x60
	s_waitcnt lgkmcnt(0)
	v_mad_u64_u32 v[0:1], s[2:3], s14, v8, 0
	v_mov_b32_e32 v2, v1
	v_mad_u64_u32 v[2:3], s[2:3], s15, v8, v[2:3]
	v_mov_b32_e32 v1, v2
	v_mad_u64_u32 v[2:3], s[2:3], s12, v27, 0
	v_mov_b32_e32 v6, v3
	v_mad_u64_u32 v[6:7], s[2:3], s13, v27, v[6:7]
	v_mov_b32_e32 v3, v6
	v_mad_u64_u32 v[6:7], s[2:3], s12, v9, 0
	v_lshl_add_u64 v[0:1], v[0:1], 3, v[4:5]
	v_mov_b32_e32 v10, v7
	v_lshl_add_u64 v[2:3], v[2:3], 3, v[0:1]
	v_mad_u64_u32 v[10:11], s[2:3], s13, v9, v[10:11]
	global_load_dwordx2 v[4:5], v[2:3], off
	v_mad_u64_u32 v[2:3], s[2:3], s12, 48, v[2:3]
	s_mul_i32 s4, s13, 48
	v_mov_b32_e32 v7, v10
	v_lshl_add_u64 v[0:1], v[6:7], 3, v[0:1]
	v_add_u32_e32 v3, s4, v3
	global_load_dwordx2 v[20:21], v29, s[8:9]
	global_load_dwordx2 v[6:7], v[0:1], off
	global_load_dwordx2 v[10:11], v29, s[8:9] offset:192
	s_mov_b32 s14, 0.5
	global_load_dwordx2 v[0:1], v[2:3], off
	v_mad_u64_u32 v[2:3], s[2:3], s12, 48, v[2:3]
	v_add_u32_e32 v3, s4, v3
	v_mad_u64_u32 v[12:13], s[2:3], s12, 48, v[2:3]
	global_load_dwordx2 v[18:19], v29, s[8:9] offset:48
	global_load_dwordx2 v[16:17], v29, s[8:9] offset:96
	v_add_u32_e32 v13, s4, v13
	global_load_dwordx2 v[22:23], v[2:3], off
	global_load_dwordx2 v[30:31], v[12:13], off
	global_load_dwordx2 v[14:15], v29, s[8:9] offset:144
	v_mad_u64_u32 v[2:3], s[2:3], s12, v25, v[12:13]
	s_mul_i32 s2, s13, 0x60
	s_nop 0
	v_add_u32_e32 v3, s2, v3
	global_load_dwordx2 v[12:13], v29, s[8:9] offset:240
	global_load_dwordx2 v[32:33], v[2:3], off
	s_mov_b32 s4, 0xcccccccd
	v_mul_hi_u32 v2, v8, s4
	v_lshrrev_b32_e32 v2, 3, v2
	v_mul_lo_u32 v2, v2, 10
	v_sub_u32_e32 v2, v8, v2
	v_mul_u32_u24_e32 v2, 36, v2
	v_lshlrev_b32_e32 v26, 3, v2
	v_add_u32_e32 v28, v29, v26
	s_load_dwordx4 s[4:7], s[6:7], 0x0
	s_mov_b32 s2, 0x3f5db3d7
	s_mov_b32 s3, 0xbf5db3d7
	;; [unrolled: 1-line block ×5, first 2 shown]
	v_mul_lo_u16_e32 v24, 6, v27
	v_lshl_add_u32 v54, v24, 3, v26
	s_waitcnt vmcnt(10)
	v_mul_f32_e32 v2, v5, v21
	v_mul_f32_e32 v3, v4, v21
	v_fmac_f32_e32 v2, v4, v20
	v_fma_f32 v3, v5, v20, -v3
	s_waitcnt vmcnt(8)
	v_mul_f32_e32 v34, v7, v11
	v_mul_f32_e32 v35, v6, v11
	v_fmac_f32_e32 v34, v6, v10
	v_fma_f32 v35, v7, v10, -v35
	;; [unrolled: 5-line block ×3, first 2 shown]
	ds_write2_b64 v28, v[2:3], v[4:5] offset1:6
	s_waitcnt vmcnt(4)
	v_mul_f32_e32 v0, v23, v17
	v_mul_f32_e32 v1, v22, v17
	s_waitcnt vmcnt(2)
	v_mul_f32_e32 v2, v31, v15
	v_mul_f32_e32 v3, v30, v15
	v_fmac_f32_e32 v0, v22, v16
	v_fma_f32 v1, v23, v16, -v1
	v_fmac_f32_e32 v2, v30, v14
	v_fma_f32 v3, v31, v14, -v3
	ds_write2_b64 v28, v[0:1], v[2:3] offset0:12 offset1:18
	s_waitcnt vmcnt(0)
	v_mul_f32_e32 v0, v33, v13
	v_mul_f32_e32 v1, v32, v13
	v_fmac_f32_e32 v0, v32, v12
	v_fma_f32 v1, v33, v12, -v1
	ds_write2_b64 v28, v[34:35], v[0:1] offset0:24 offset1:30
	s_waitcnt lgkmcnt(0)
	; wave barrier
	s_waitcnt lgkmcnt(0)
	ds_read2_b64 v[0:3], v28 offset1:6
	ds_read2_b64 v[4:7], v28 offset0:12 offset1:18
	ds_read2_b64 v[30:33], v28 offset0:24 offset1:30
	s_waitcnt lgkmcnt(0)
	; wave barrier
	s_waitcnt lgkmcnt(0)
	v_pk_add_f32 v[22:23], v[0:1], v[4:5]
	v_pk_add_f32 v[34:35], v[2:3], v[6:7]
	;; [unrolled: 1-line block ×3, first 2 shown]
	v_pk_add_f32 v[4:5], v[4:5], v[30:31] neg_lo:[0,1] neg_hi:[0,1]
	v_pk_add_f32 v[22:23], v[22:23], v[30:31]
	v_pk_add_f32 v[30:31], v[34:35], v[32:33]
	v_pk_fma_f32 v[34:35], v[36:37], 0.5, v[0:1] op_sel_hi:[1,0,1] neg_lo:[1,0,0] neg_hi:[1,0,0]
	v_pk_mul_f32 v[4:5], v[4:5], s[2:3] op_sel_hi:[1,0]
	v_pk_add_f32 v[0:1], v[22:23], v[30:31]
	v_pk_add_f32 v[36:37], v[34:35], v[4:5] op_sel:[0,1] op_sel_hi:[1,0]
	v_pk_add_f32 v[34:35], v[34:35], v[4:5] op_sel:[0,1] op_sel_hi:[1,0] neg_lo:[0,1] neg_hi:[0,1]
	v_pk_add_f32 v[4:5], v[6:7], v[32:33]
	v_mov_b32_e32 v38, v36
	v_pk_fma_f32 v[2:3], v[4:5], 0.5, v[2:3] op_sel_hi:[1,0,1] neg_lo:[1,0,0] neg_hi:[1,0,0]
	v_pk_add_f32 v[4:5], v[6:7], v[32:33] neg_lo:[0,1] neg_hi:[0,1]
	v_mov_b32_e32 v39, v35
	v_pk_fma_f32 v[6:7], v[4:5], s[2:3], v[2:3] op_sel:[0,0,1] op_sel_hi:[1,0,0]
	v_pk_fma_f32 v[2:3], v[4:5], s[2:3], v[2:3] op_sel:[0,0,1] op_sel_hi:[1,0,0] neg_lo:[1,0,0] neg_hi:[1,0,0]
	v_mov_b32_e32 v4, v6
	v_mov_b32_e32 v5, v3
	v_pk_mul_f32 v[32:33], v[4:5], 0.5 op_sel_hi:[1,0]
	v_mov_b32_e32 v35, v37
	v_pk_fma_f32 v[32:33], v[4:5], s[2:3], v[32:33] op_sel:[0,0,1] op_sel_hi:[1,1,0] neg_lo:[0,0,1] neg_hi:[0,0,1]
	v_pk_mul_f32 v[4:5], v[6:7], s[14:15] op_sel:[1,0]
	v_pk_add_f32 v[6:7], v[22:23], v[30:31] neg_lo:[0,1] neg_hi:[0,1]
	v_pk_fma_f32 v[36:37], v[2:3], s[12:13], v[4:5]
	v_pk_fma_f32 v[2:3], v[2:3], s[12:13], v[4:5] op_sel_hi:[0,1,1] neg_lo:[0,0,1] neg_hi:[0,0,1]
	v_mov_b32_e32 v37, v3
	v_pk_add_f32 v[2:3], v[38:39], v[36:37]
	v_pk_add_f32 v[4:5], v[34:35], v[32:33]
	ds_write_b128 v54, v[0:3]
	v_pk_add_f32 v[0:1], v[38:39], v[36:37] neg_lo:[0,1] neg_hi:[0,1]
	v_pk_add_f32 v[2:3], v[34:35], v[32:33] neg_lo:[0,1] neg_hi:[0,1]
	v_mad_u64_u32 v[30:31], s[10:11], v27, 40, s[10:11]
	ds_write_b128 v54, v[4:7] offset:16
	ds_write_b128 v54, v[0:3] offset:32
	s_waitcnt lgkmcnt(0)
	; wave barrier
	s_waitcnt lgkmcnt(0)
	global_load_dwordx4 v[4:7], v[30:31], off
	global_load_dwordx4 v[0:3], v[30:31], off offset:16
	global_load_dwordx2 v[22:23], v[30:31], off offset:32
	ds_read2_b64 v[30:33], v28 offset1:6
	ds_read2_b64 v[34:37], v28 offset0:12 offset1:18
	ds_read2_b64 v[38:41], v28 offset0:24 offset1:30
	s_add_u32 s10, s8, 0x120
	s_addc_u32 s11, s9, 0
	s_waitcnt vmcnt(2) lgkmcnt(2)
	v_pk_mul_f32 v[42:43], v[32:33], v[4:5] op_sel:[0,1]
	v_mov_b32_e32 v24, v7
	s_waitcnt vmcnt(1) lgkmcnt(1)
	v_pk_mul_f32 v[44:45], v[36:37], v[0:1] op_sel:[0,1]
	v_mov_b32_e32 v26, v3
	s_waitcnt vmcnt(0) lgkmcnt(0)
	v_pk_mul_f32 v[46:47], v[40:41], v[22:23] op_sel:[0,1]
	v_pk_fma_f32 v[48:49], v[32:33], v[4:5], v[42:43] op_sel:[0,0,1] op_sel_hi:[1,1,0] neg_lo:[0,0,1] neg_hi:[0,0,1]
	v_pk_fma_f32 v[32:33], v[32:33], v[4:5], v[42:43] op_sel:[0,0,1] op_sel_hi:[1,0,0]
	v_pk_mul_f32 v[42:43], v[34:35], v[24:25] op_sel_hi:[1,0]
	v_pk_fma_f32 v[50:51], v[36:37], v[0:1], v[44:45] op_sel:[0,0,1] op_sel_hi:[1,1,0] neg_lo:[0,0,1] neg_hi:[0,0,1]
	v_pk_fma_f32 v[36:37], v[36:37], v[0:1], v[44:45] op_sel:[0,0,1] op_sel_hi:[1,0,0]
	v_pk_fma_f32 v[44:45], v[34:35], v[6:7], v[42:43] op_sel:[0,0,1] op_sel_hi:[1,1,0] neg_lo:[0,0,1] neg_hi:[0,0,1]
	v_pk_fma_f32 v[34:35], v[34:35], v[6:7], v[42:43] op_sel:[0,0,1] op_sel_hi:[1,0,0]
	v_pk_mul_f32 v[42:43], v[38:39], v[26:27] op_sel_hi:[1,0]
	v_pk_fma_f32 v[52:53], v[40:41], v[22:23], v[46:47] op_sel:[0,0,1] op_sel_hi:[1,1,0] neg_lo:[0,0,1] neg_hi:[0,0,1]
	v_pk_fma_f32 v[40:41], v[40:41], v[22:23], v[46:47] op_sel:[0,0,1] op_sel_hi:[1,0,0]
	v_mov_b32_e32 v49, v33
	v_mov_b32_e32 v51, v37
	v_pk_fma_f32 v[32:33], v[38:39], v[2:3], v[42:43] op_sel:[0,0,1] op_sel_hi:[1,1,0] neg_lo:[0,0,1] neg_hi:[0,0,1]
	v_pk_fma_f32 v[36:37], v[38:39], v[2:3], v[42:43] op_sel:[0,0,1] op_sel_hi:[1,0,0]
	v_mov_b32_e32 v53, v41
	v_mov_b32_e32 v45, v35
	;; [unrolled: 1-line block ×3, first 2 shown]
	v_pk_add_f32 v[36:37], v[50:51], v[52:53]
	v_pk_add_f32 v[38:39], v[50:51], v[52:53] neg_lo:[0,1] neg_hi:[0,1]
	v_pk_add_f32 v[40:41], v[30:31], v[44:45]
	v_pk_add_f32 v[42:43], v[44:45], v[32:33]
	v_pk_add_f32 v[44:45], v[44:45], v[32:33] neg_lo:[0,1] neg_hi:[0,1]
	v_pk_fma_f32 v[36:37], v[36:37], 0.5, v[48:49] op_sel_hi:[1,0,1] neg_lo:[1,0,0] neg_hi:[1,0,0]
	v_pk_add_f32 v[32:33], v[40:41], v[32:33]
	v_pk_fma_f32 v[30:31], v[42:43], 0.5, v[30:31] op_sel_hi:[1,0,1] neg_lo:[1,0,0] neg_hi:[1,0,0]
	v_pk_mul_f32 v[40:41], v[44:45], s[2:3] op_sel_hi:[1,0]
	v_pk_fma_f32 v[42:43], v[38:39], s[2:3], v[36:37] op_sel:[0,0,1] op_sel_hi:[1,0,0]
	v_pk_fma_f32 v[36:37], v[38:39], s[2:3], v[36:37] op_sel:[0,0,1] op_sel_hi:[1,0,0] neg_lo:[1,0,0] neg_hi:[1,0,0]
	v_pk_add_f32 v[34:35], v[48:49], v[50:51]
	v_pk_add_f32 v[44:45], v[40:41], v[30:31] op_sel:[1,0] op_sel_hi:[0,1]
	v_pk_add_f32 v[30:31], v[30:31], v[40:41] op_sel:[0,1] op_sel_hi:[1,0] neg_lo:[0,1] neg_hi:[0,1]
	v_mov_b32_e32 v40, v42
	v_mov_b32_e32 v41, v37
	v_mul_f32_e32 v49, 0xbf5db3d7, v43
	v_mul_f32_e32 v48, 0x3f5db3d7, v36
	v_fmac_f32_e32 v49, 0.5, v36
	v_pk_mul_f32 v[36:37], v[40:41], 0.5 op_sel_hi:[1,0]
	v_pk_add_f32 v[34:35], v[34:35], v[52:53]
	v_mov_b32_e32 v46, v30
	v_mov_b32_e32 v47, v45
	v_fmac_f32_e32 v48, 0.5, v43
	v_pk_fma_f32 v[36:37], v[40:41], s[2:3], v[36:37] op_sel:[0,0,1] op_sel_hi:[1,1,0] neg_lo:[0,0,1] neg_hi:[0,0,1]
	v_pk_add_f32 v[38:39], v[32:33], v[34:35]
	v_add_f32_e32 v42, v44, v48
	v_add_f32_e32 v43, v31, v49
	v_pk_add_f32 v[40:41], v[46:47], v[36:37]
	v_pk_add_f32 v[32:33], v[32:33], v[34:35] neg_lo:[0,1] neg_hi:[0,1]
	v_sub_f32_e32 v30, v44, v48
	v_sub_f32_e32 v31, v31, v49
	ds_write2_b64 v28, v[38:39], v[42:43] offset1:6
	ds_write2_b64 v28, v[40:41], v[32:33] offset0:12 offset1:18
	v_pk_add_f32 v[32:33], v[46:47], v[36:37] neg_lo:[0,1] neg_hi:[0,1]
	ds_write2_b64 v28, v[30:31], v[32:33] offset0:24 offset1:30
	s_waitcnt lgkmcnt(0)
	; wave barrier
	s_waitcnt lgkmcnt(0)
	global_load_dwordx2 v[38:39], v29, s[8:9] offset:288
	global_load_dwordx2 v[40:41], v29, s[10:11] offset:48
	;; [unrolled: 1-line block ×6, first 2 shown]
	ds_read2_b64 v[30:33], v28 offset1:6
	ds_read2_b64 v[34:37], v28 offset0:12 offset1:18
	s_load_dwordx2 s[8:9], s[0:1], 0x38
	s_mov_b32 s0, -0.5
	s_mov_b32 s1, s2
	s_waitcnt lgkmcnt(0)
	v_mov_b32_e32 v50, s8
	s_waitcnt vmcnt(4)
	v_mul_f32_e32 v51, v33, v41
	v_mul_f32_e32 v29, v31, v39
	;; [unrolled: 1-line block ×4, first 2 shown]
	v_fma_f32 v52, v30, v38, -v29
	v_fmac_f32_e32 v53, v31, v38
	v_fma_f32 v38, v32, v40, -v51
	v_fmac_f32_e32 v39, v33, v40
	ds_read2_b64 v[30:33], v28 offset0:24 offset1:30
	s_waitcnt vmcnt(3)
	v_mul_f32_e32 v29, v35, v43
	v_mul_f32_e32 v41, v34, v43
	s_waitcnt vmcnt(2)
	v_mul_f32_e32 v51, v37, v45
	v_mul_f32_e32 v43, v36, v45
	v_fma_f32 v40, v34, v42, -v29
	v_fmac_f32_e32 v41, v35, v42
	s_waitcnt vmcnt(1) lgkmcnt(0)
	v_mul_f32_e32 v29, v31, v47
	v_fma_f32 v42, v36, v44, -v51
	v_mul_f32_e32 v35, v30, v47
	v_fmac_f32_e32 v43, v37, v44
	s_waitcnt vmcnt(0)
	v_mul_f32_e32 v36, v33, v49
	v_mul_f32_e32 v37, v32, v49
	v_fma_f32 v34, v30, v46, -v29
	v_fmac_f32_e32 v35, v31, v46
	v_fma_f32 v36, v32, v48, -v36
	v_fmac_f32_e32 v37, v33, v48
	ds_write2_b64 v28, v[52:53], v[38:39] offset1:6
	ds_write2_b64 v28, v[40:41], v[42:43] offset0:12 offset1:18
	ds_write2_b64 v28, v[34:35], v[36:37] offset0:24 offset1:30
	s_waitcnt lgkmcnt(0)
	; wave barrier
	s_waitcnt lgkmcnt(0)
	ds_read2_b64 v[30:33], v28 offset1:6
	ds_read2_b64 v[34:37], v28 offset0:12 offset1:18
	ds_read2_b64 v[38:41], v28 offset0:24 offset1:30
	s_waitcnt lgkmcnt(0)
	; wave barrier
	s_waitcnt lgkmcnt(0)
	v_mov_b32_e32 v51, s9
	v_pk_add_f32 v[42:43], v[30:31], v[34:35]
	v_pk_add_f32 v[44:45], v[36:37], v[40:41]
	v_pk_add_f32 v[46:47], v[36:37], v[40:41] neg_lo:[0,1] neg_hi:[0,1]
	v_pk_add_f32 v[36:37], v[32:33], v[36:37]
	v_pk_add_f32 v[48:49], v[34:35], v[38:39]
	v_pk_add_f32 v[34:35], v[34:35], v[38:39] neg_lo:[0,1] neg_hi:[0,1]
	v_pk_add_f32 v[36:37], v[36:37], v[40:41]
	v_fma_f32 v40, -0.5, v45, v33
	v_pk_add_f32 v[38:39], v[42:43], v[38:39]
	v_fma_f32 v32, -0.5, v44, v32
	v_pk_fma_f32 v[42:43], v[48:49], 0.5, v[30:31] op_sel_hi:[1,0,1] neg_lo:[1,0,0] neg_hi:[1,0,0]
	v_pk_mul_f32 v[34:35], v[34:35], s[2:3] op_sel_hi:[1,0]
	v_fmamk_f32 v48, v46, 0x3f5db3d7, v40
	v_fmamk_f32 v44, v47, 0xbf5db3d7, v32
	v_fmac_f32_e32 v32, 0x3f5db3d7, v47
	v_fmac_f32_e32 v40, 0xbf5db3d7, v46
	v_pk_add_f32 v[46:47], v[42:43], v[34:35] op_sel:[0,1] op_sel_hi:[1,0] neg_lo:[0,1] neg_hi:[0,1]
	v_pk_add_f32 v[42:43], v[42:43], v[34:35] op_sel:[0,1] op_sel_hi:[1,0]
	v_pk_mul_f32 v[34:35], v[48:49], s[12:13] op_sel_hi:[0,1]
	v_pk_add_f32 v[30:31], v[38:39], v[36:37]
	v_pk_add_f32 v[36:37], v[38:39], v[36:37] neg_lo:[0,1] neg_hi:[0,1]
	v_pk_mul_f32 v[38:39], v[40:41], s[12:13] op_sel_hi:[0,1]
	v_pk_fma_f32 v[40:41], v[44:45], s[14:15], v[34:35] neg_lo:[0,0,1] neg_hi:[0,0,1]
	v_pk_fma_f32 v[34:35], v[44:45], s[14:15], v[34:35] op_sel_hi:[0,1,1]
	v_mov_b32_e32 v52, v46
	v_mov_b32_e32 v53, v43
	;; [unrolled: 1-line block ×3, first 2 shown]
	v_pk_fma_f32 v[32:33], v[32:33], s[0:1], v[38:39] op_sel_hi:[0,1,1] neg_lo:[0,0,1] neg_hi:[0,0,1]
	v_mov_b32_e32 v41, v35
	v_pk_add_f32 v[34:35], v[42:43], v[32:33]
	v_pk_add_f32 v[38:39], v[42:43], v[32:33] neg_lo:[0,1] neg_hi:[0,1]
	v_pk_add_f32 v[32:33], v[52:53], v[40:41]
	ds_write_b128 v54, v[34:37] offset:16
	v_pk_add_f32 v[36:37], v[52:53], v[40:41] neg_lo:[0,1] neg_hi:[0,1]
	ds_write_b128 v54, v[30:33]
	ds_write_b128 v54, v[36:39] offset:32
	s_waitcnt lgkmcnt(0)
	; wave barrier
	s_waitcnt lgkmcnt(0)
	ds_read2_b64 v[30:33], v28 offset1:6
	ds_read2_b64 v[34:37], v28 offset0:12 offset1:18
	ds_read2_b64 v[38:41], v28 offset0:24 offset1:30
	v_mad_u64_u32 v[42:43], s[8:9], s6, v8, 0
	s_mul_i32 s6, s5, 48
	s_waitcnt lgkmcnt(2)
	v_pk_mul_f32 v[44:45], v[4:5], v[32:33] op_sel:[1,0]
	s_nop 0
	v_pk_fma_f32 v[46:47], v[4:5], v[32:33], v[44:45] op_sel:[0,0,1] op_sel_hi:[0,1,0]
	v_pk_fma_f32 v[4:5], v[4:5], v[32:33], v[44:45] op_sel:[0,0,1] op_sel_hi:[0,1,0] neg_lo:[0,0,1] neg_hi:[0,0,1]
	s_waitcnt lgkmcnt(1)
	v_pk_mul_f32 v[32:33], v[24:25], v[34:35] op_sel_hi:[0,1]
	v_pk_fma_f32 v[44:45], v[6:7], v[34:35], v[32:33] op_sel:[0,0,1] op_sel_hi:[1,1,0]
	v_pk_fma_f32 v[6:7], v[6:7], v[34:35], v[32:33] op_sel:[0,0,1] op_sel_hi:[0,1,0] neg_lo:[0,0,1] neg_hi:[0,0,1]
	v_mov_b32_e32 v45, v7
	v_pk_mul_f32 v[6:7], v[0:1], v[36:37] op_sel:[1,0]
	v_mov_b32_e32 v4, v46
	v_pk_fma_f32 v[32:33], v[0:1], v[36:37], v[6:7] op_sel:[0,0,1] op_sel_hi:[1,1,0]
	v_pk_fma_f32 v[0:1], v[0:1], v[36:37], v[6:7] op_sel:[0,0,1] op_sel_hi:[0,1,0] neg_lo:[0,0,1] neg_hi:[0,0,1]
	v_mov_b32_e32 v33, v1
	s_waitcnt lgkmcnt(0)
	v_pk_mul_f32 v[0:1], v[26:27], v[38:39] op_sel_hi:[0,1]
	v_pk_fma_f32 v[6:7], v[2:3], v[38:39], v[0:1] op_sel:[0,0,1] op_sel_hi:[1,1,0]
	v_pk_fma_f32 v[0:1], v[2:3], v[38:39], v[0:1] op_sel:[0,0,1] op_sel_hi:[0,1,0] neg_lo:[0,0,1] neg_hi:[0,0,1]
	v_mov_b32_e32 v7, v1
	v_pk_mul_f32 v[0:1], v[22:23], v[40:41] op_sel:[1,0]
	v_mov_b32_e32 v47, v5
	v_pk_fma_f32 v[2:3], v[22:23], v[40:41], v[0:1] op_sel:[0,0,1] op_sel_hi:[1,1,0]
	v_pk_fma_f32 v[0:1], v[22:23], v[40:41], v[0:1] op_sel:[0,0,1] op_sel_hi:[0,1,0] neg_lo:[0,0,1] neg_hi:[0,0,1]
	v_mov_b32_e32 v3, v1
	v_pk_add_f32 v[22:23], v[32:33], v[2:3]
	v_pk_add_f32 v[0:1], v[30:31], v[44:45]
	v_fmac_f32_e32 v4, -0.5, v22
	v_pk_add_f32 v[34:35], v[32:33], v[2:3] neg_lo:[0,1] neg_hi:[0,1]
	v_fmac_f32_e32 v5, -0.5, v23
	v_pk_add_f32 v[0:1], v[0:1], v[6:7]
	v_fmamk_f32 v22, v35, 0xbf5db3d7, v4
	v_fmac_f32_e32 v4, 0x3f5db3d7, v35
	v_fmamk_f32 v24, v34, 0x3f5db3d7, v5
	v_fmac_f32_e32 v5, 0xbf5db3d7, v34
	v_pk_add_f32 v[34:35], v[44:45], v[6:7]
	v_pk_add_f32 v[6:7], v[44:45], v[6:7] neg_lo:[0,1] neg_hi:[0,1]
	v_pk_fma_f32 v[30:31], v[34:35], 0.5, v[30:31] op_sel_hi:[1,0,1] neg_lo:[1,0,0] neg_hi:[1,0,0]
	v_pk_mul_f32 v[6:7], v[6:7], s[2:3] op_sel_hi:[1,0]
	v_pk_mul_f32 v[36:37], v[24:25], s[12:13] op_sel_hi:[0,1]
	v_pk_add_f32 v[32:33], v[46:47], v[32:33]
	v_pk_add_f32 v[34:35], v[30:31], v[6:7] op_sel:[0,1] op_sel_hi:[1,0] neg_lo:[0,1] neg_hi:[0,1]
	v_pk_add_f32 v[6:7], v[30:31], v[6:7] op_sel:[0,1] op_sel_hi:[1,0]
	v_pk_fma_f32 v[38:39], v[22:23], s[14:15], v[36:37] neg_lo:[0,0,1] neg_hi:[0,0,1]
	v_pk_fma_f32 v[22:23], v[22:23], s[14:15], v[36:37] op_sel_hi:[0,1,1]
	v_pk_add_f32 v[2:3], v[32:33], v[2:3]
	v_mov_b32_e32 v30, v34
	v_mov_b32_e32 v31, v7
	;; [unrolled: 1-line block ×3, first 2 shown]
	v_pk_add_f32 v[32:33], v[0:1], v[2:3]
	v_pk_add_f32 v[22:23], v[30:31], v[38:39]
	ds_write2_b64 v28, v[32:33], v[22:23] offset1:6
	v_mov_b32_e32 v22, v5
	v_pk_mul_f32 v[22:23], v[22:23], s[12:13] op_sel_hi:[0,1]
	v_pk_fma_f32 v[4:5], v[4:5], s[0:1], v[22:23] op_sel_hi:[0,1,1] neg_lo:[0,0,1] neg_hi:[0,0,1]
	v_mov_b32_e32 v7, v35
	v_pk_add_f32 v[22:23], v[6:7], v[4:5]
	v_pk_add_f32 v[0:1], v[0:1], v[2:3] neg_lo:[0,1] neg_hi:[0,1]
	ds_write2_b64 v28, v[22:23], v[0:1] offset0:12 offset1:18
	v_pk_add_f32 v[0:1], v[30:31], v[38:39] neg_lo:[0,1] neg_hi:[0,1]
	v_pk_add_f32 v[2:3], v[6:7], v[4:5] neg_lo:[0,1] neg_hi:[0,1]
	ds_write2_b64 v28, v[0:1], v[2:3] offset0:24 offset1:30
	s_waitcnt lgkmcnt(0)
	; wave barrier
	s_waitcnt lgkmcnt(0)
	ds_read2_b64 v[0:3], v28 offset1:6
	v_mov_b32_e32 v4, v43
	v_mad_u64_u32 v[4:5], s[0:1], s7, v8, v[4:5]
	v_mov_b32_e32 v43, v4
	s_waitcnt lgkmcnt(0)
	v_mul_f32_e32 v4, v21, v1
	v_fmac_f32_e32 v4, v20, v0
	v_mul_f32_e32 v0, v21, v0
	s_mov_b32 s0, 0x1c71c71c
	v_fma_f32 v0, v20, v1, -v0
	v_cvt_f64_f32_e32 v[4:5], v4
	s_mov_b32 s1, 0x3f9c71c7
	v_cvt_f64_f32_e32 v[0:1], v0
	v_mul_f64 v[4:5], v[4:5], s[0:1]
	v_mul_f64 v[0:1], v[0:1], s[0:1]
	v_cvt_f32_f64_e32 v4, v[4:5]
	v_cvt_f32_f64_e32 v5, v[0:1]
	v_mad_u64_u32 v[0:1], s[2:3], s4, v27, 0
	v_mov_b32_e32 v6, v1
	v_mad_u64_u32 v[6:7], s[2:3], s5, v27, v[6:7]
	v_mov_b32_e32 v1, v6
	v_lshl_add_u64 v[6:7], v[42:43], 3, v[50:51]
	v_lshl_add_u64 v[20:21], v[0:1], 3, v[6:7]
	v_mul_f32_e32 v0, v19, v3
	v_fmac_f32_e32 v0, v18, v2
	v_cvt_f64_f32_e32 v[0:1], v0
	v_mul_f64 v[0:1], v[0:1], s[0:1]
	global_store_dwordx2 v[20:21], v[4:5], off
	v_cvt_f32_f64_e32 v4, v[0:1]
	v_mul_f32_e32 v0, v19, v2
	v_fma_f32 v0, v18, v3, -v0
	v_cvt_f64_f32_e32 v[0:1], v0
	v_mul_f64 v[0:1], v[0:1], s[0:1]
	v_cvt_f32_f64_e32 v5, v[0:1]
	ds_read2_b64 v[0:3], v28 offset0:12 offset1:18
	v_mad_u64_u32 v[18:19], s[2:3], s4, 48, v[20:21]
	v_add_u32_e32 v19, s6, v19
	global_store_dwordx2 v[18:19], v[4:5], off
	s_waitcnt lgkmcnt(0)
	v_mul_f32_e32 v4, v17, v1
	v_fmac_f32_e32 v4, v16, v0
	v_mul_f32_e32 v0, v17, v0
	v_fma_f32 v0, v16, v1, -v0
	v_cvt_f64_f32_e32 v[4:5], v4
	v_cvt_f64_f32_e32 v[0:1], v0
	v_mul_f64 v[4:5], v[4:5], s[0:1]
	v_mul_f64 v[0:1], v[0:1], s[0:1]
	v_cvt_f32_f64_e32 v4, v[4:5]
	v_cvt_f32_f64_e32 v5, v[0:1]
	v_mul_f32_e32 v0, v15, v3
	v_fmac_f32_e32 v0, v14, v2
	v_mad_u64_u32 v[16:17], s[2:3], s4, 48, v[18:19]
	v_cvt_f64_f32_e32 v[0:1], v0
	v_add_u32_e32 v17, s6, v17
	v_mul_f64 v[0:1], v[0:1], s[0:1]
	global_store_dwordx2 v[16:17], v[4:5], off
	v_cvt_f32_f64_e32 v4, v[0:1]
	v_mul_f32_e32 v0, v15, v2
	v_fma_f32 v0, v14, v3, -v0
	v_cvt_f64_f32_e32 v[0:1], v0
	v_mul_f64 v[0:1], v[0:1], s[0:1]
	v_cvt_f32_f64_e32 v5, v[0:1]
	ds_read2_b64 v[0:3], v28 offset0:24 offset1:30
	v_mad_u64_u32 v[14:15], s[2:3], s4, 48, v[16:17]
	v_add_u32_e32 v15, s6, v15
	global_store_dwordx2 v[14:15], v[4:5], off
	s_waitcnt lgkmcnt(0)
	v_mul_f32_e32 v4, v11, v1
	v_fmac_f32_e32 v4, v10, v0
	v_mul_f32_e32 v0, v11, v0
	v_fma_f32 v0, v10, v1, -v0
	v_cvt_f64_f32_e32 v[4:5], v4
	v_cvt_f64_f32_e32 v[0:1], v0
	v_mul_f64 v[4:5], v[4:5], s[0:1]
	v_mul_f64 v[0:1], v[0:1], s[0:1]
	v_cvt_f32_f64_e32 v4, v[4:5]
	v_cvt_f32_f64_e32 v5, v[0:1]
	v_mad_u64_u32 v[0:1], s[2:3], s4, v9, 0
	v_mov_b32_e32 v8, v1
	v_mad_u64_u32 v[8:9], s[2:3], s5, v9, v[8:9]
	v_mov_b32_e32 v1, v8
	v_lshl_add_u64 v[0:1], v[0:1], 3, v[6:7]
	global_store_dwordx2 v[0:1], v[4:5], off
	v_mul_f32_e32 v0, v13, v3
	v_fmac_f32_e32 v0, v12, v2
	v_cvt_f64_f32_e32 v[0:1], v0
	v_mul_f64 v[0:1], v[0:1], s[0:1]
	v_cvt_f32_f64_e32 v0, v[0:1]
	v_mul_f32_e32 v1, v13, v2
	v_fma_f32 v1, v12, v3, -v1
	v_cvt_f64_f32_e32 v[2:3], v1
	v_mul_f64 v[2:3], v[2:3], s[0:1]
	v_cvt_f32_f64_e32 v1, v[2:3]
	v_mad_u64_u32 v[2:3], s[0:1], s4, v25, v[14:15]
	s_mul_i32 s0, s5, 0x60
	s_nop 0
	v_add_u32_e32 v3, s0, v3
	global_store_dwordx2 v[2:3], v[0:1], off
.LBB0_2:
	s_endpgm
	.section	.rodata,"a",@progbits
	.p2align	6, 0x0
	.amdhsa_kernel bluestein_single_back_len36_dim1_sp_op_CI_CI
		.amdhsa_group_segment_fixed_size 2880
		.amdhsa_private_segment_fixed_size 0
		.amdhsa_kernarg_size 104
		.amdhsa_user_sgpr_count 2
		.amdhsa_user_sgpr_dispatch_ptr 0
		.amdhsa_user_sgpr_queue_ptr 0
		.amdhsa_user_sgpr_kernarg_segment_ptr 1
		.amdhsa_user_sgpr_dispatch_id 0
		.amdhsa_user_sgpr_kernarg_preload_length 0
		.amdhsa_user_sgpr_kernarg_preload_offset 0
		.amdhsa_user_sgpr_private_segment_size 0
		.amdhsa_uses_dynamic_stack 0
		.amdhsa_enable_private_segment 0
		.amdhsa_system_sgpr_workgroup_id_x 1
		.amdhsa_system_sgpr_workgroup_id_y 0
		.amdhsa_system_sgpr_workgroup_id_z 0
		.amdhsa_system_sgpr_workgroup_info 0
		.amdhsa_system_vgpr_workitem_id 0
		.amdhsa_next_free_vgpr 55
		.amdhsa_next_free_sgpr 20
		.amdhsa_accum_offset 56
		.amdhsa_reserve_vcc 1
		.amdhsa_float_round_mode_32 0
		.amdhsa_float_round_mode_16_64 0
		.amdhsa_float_denorm_mode_32 3
		.amdhsa_float_denorm_mode_16_64 3
		.amdhsa_dx10_clamp 1
		.amdhsa_ieee_mode 1
		.amdhsa_fp16_overflow 0
		.amdhsa_tg_split 0
		.amdhsa_exception_fp_ieee_invalid_op 0
		.amdhsa_exception_fp_denorm_src 0
		.amdhsa_exception_fp_ieee_div_zero 0
		.amdhsa_exception_fp_ieee_overflow 0
		.amdhsa_exception_fp_ieee_underflow 0
		.amdhsa_exception_fp_ieee_inexact 0
		.amdhsa_exception_int_div_zero 0
	.end_amdhsa_kernel
	.text
.Lfunc_end0:
	.size	bluestein_single_back_len36_dim1_sp_op_CI_CI, .Lfunc_end0-bluestein_single_back_len36_dim1_sp_op_CI_CI
                                        ; -- End function
	.section	.AMDGPU.csdata,"",@progbits
; Kernel info:
; codeLenInByte = 3040
; NumSgprs: 26
; NumVgprs: 55
; NumAgprs: 0
; TotalNumVgprs: 55
; ScratchSize: 0
; MemoryBound: 0
; FloatMode: 240
; IeeeMode: 1
; LDSByteSize: 2880 bytes/workgroup (compile time only)
; SGPRBlocks: 3
; VGPRBlocks: 6
; NumSGPRsForWavesPerEU: 26
; NumVGPRsForWavesPerEU: 55
; AccumOffset: 56
; Occupancy: 8
; WaveLimiterHint : 1
; COMPUTE_PGM_RSRC2:SCRATCH_EN: 0
; COMPUTE_PGM_RSRC2:USER_SGPR: 2
; COMPUTE_PGM_RSRC2:TRAP_HANDLER: 0
; COMPUTE_PGM_RSRC2:TGID_X_EN: 1
; COMPUTE_PGM_RSRC2:TGID_Y_EN: 0
; COMPUTE_PGM_RSRC2:TGID_Z_EN: 0
; COMPUTE_PGM_RSRC2:TIDIG_COMP_CNT: 0
; COMPUTE_PGM_RSRC3_GFX90A:ACCUM_OFFSET: 13
; COMPUTE_PGM_RSRC3_GFX90A:TG_SPLIT: 0
	.text
	.p2alignl 6, 3212836864
	.fill 256, 4, 3212836864
	.type	__hip_cuid_1cc0c86e02746b31,@object ; @__hip_cuid_1cc0c86e02746b31
	.section	.bss,"aw",@nobits
	.globl	__hip_cuid_1cc0c86e02746b31
__hip_cuid_1cc0c86e02746b31:
	.byte	0                               ; 0x0
	.size	__hip_cuid_1cc0c86e02746b31, 1

	.ident	"AMD clang version 19.0.0git (https://github.com/RadeonOpenCompute/llvm-project roc-6.4.0 25133 c7fe45cf4b819c5991fe208aaa96edf142730f1d)"
	.section	".note.GNU-stack","",@progbits
	.addrsig
	.addrsig_sym __hip_cuid_1cc0c86e02746b31
	.amdgpu_metadata
---
amdhsa.kernels:
  - .agpr_count:     0
    .args:
      - .actual_access:  read_only
        .address_space:  global
        .offset:         0
        .size:           8
        .value_kind:     global_buffer
      - .actual_access:  read_only
        .address_space:  global
        .offset:         8
        .size:           8
        .value_kind:     global_buffer
      - .actual_access:  read_only
        .address_space:  global
        .offset:         16
        .size:           8
        .value_kind:     global_buffer
      - .actual_access:  read_only
        .address_space:  global
        .offset:         24
        .size:           8
        .value_kind:     global_buffer
      - .actual_access:  read_only
        .address_space:  global
        .offset:         32
        .size:           8
        .value_kind:     global_buffer
      - .offset:         40
        .size:           8
        .value_kind:     by_value
      - .address_space:  global
        .offset:         48
        .size:           8
        .value_kind:     global_buffer
      - .address_space:  global
        .offset:         56
        .size:           8
        .value_kind:     global_buffer
      - .address_space:  global
        .offset:         64
        .size:           8
        .value_kind:     global_buffer
      - .address_space:  global
        .offset:         72
        .size:           8
        .value_kind:     global_buffer
      - .offset:         80
        .size:           4
        .value_kind:     by_value
      - .address_space:  global
        .offset:         88
        .size:           8
        .value_kind:     global_buffer
      - .address_space:  global
        .offset:         96
        .size:           8
        .value_kind:     global_buffer
    .group_segment_fixed_size: 2880
    .kernarg_segment_align: 8
    .kernarg_segment_size: 104
    .language:       OpenCL C
    .language_version:
      - 2
      - 0
    .max_flat_workgroup_size: 60
    .name:           bluestein_single_back_len36_dim1_sp_op_CI_CI
    .private_segment_fixed_size: 0
    .sgpr_count:     26
    .sgpr_spill_count: 0
    .symbol:         bluestein_single_back_len36_dim1_sp_op_CI_CI.kd
    .uniform_work_group_size: 1
    .uses_dynamic_stack: false
    .vgpr_count:     55
    .vgpr_spill_count: 0
    .wavefront_size: 64
amdhsa.target:   amdgcn-amd-amdhsa--gfx950
amdhsa.version:
  - 1
  - 2
...

	.end_amdgpu_metadata
